;; amdgpu-corpus repo=ROCm/rocFFT kind=compiled arch=gfx950 opt=O3
	.text
	.amdgcn_target "amdgcn-amd-amdhsa--gfx950"
	.amdhsa_code_object_version 6
	.protected	fft_rtc_fwd_len363_factors_11_3_11_wgs_99_tpt_33_halfLds_sp_op_CI_CI_sbrr_dirReg ; -- Begin function fft_rtc_fwd_len363_factors_11_3_11_wgs_99_tpt_33_halfLds_sp_op_CI_CI_sbrr_dirReg
	.globl	fft_rtc_fwd_len363_factors_11_3_11_wgs_99_tpt_33_halfLds_sp_op_CI_CI_sbrr_dirReg
	.p2align	8
	.type	fft_rtc_fwd_len363_factors_11_3_11_wgs_99_tpt_33_halfLds_sp_op_CI_CI_sbrr_dirReg,@function
fft_rtc_fwd_len363_factors_11_3_11_wgs_99_tpt_33_halfLds_sp_op_CI_CI_sbrr_dirReg: ; @fft_rtc_fwd_len363_factors_11_3_11_wgs_99_tpt_33_halfLds_sp_op_CI_CI_sbrr_dirReg
; %bb.0:
	s_load_dwordx4 s[12:15], s[0:1], 0x18
	s_load_dwordx4 s[4:7], s[0:1], 0x0
	;; [unrolled: 1-line block ×3, first 2 shown]
	v_mul_u32_u24_e32 v1, 0x7c2, v0
	v_lshrrev_b32_e32 v2, 16, v1
	s_waitcnt lgkmcnt(0)
	s_load_dwordx2 s[18:19], s[12:13], 0x0
	s_load_dwordx2 s[16:17], s[14:15], 0x0
	v_mad_u64_u32 v[8:9], s[2:3], s2, 3, v[2:3]
	v_mov_b32_e32 v6, 0
	v_mov_b32_e32 v9, v6
	v_cmp_lt_u64_e64 s[2:3], s[6:7], 2
	v_mov_b64_e32 v[30:31], 0
	s_and_b64 vcc, exec, s[2:3]
	v_mov_b64_e32 v[2:3], v[30:31]
	v_mov_b64_e32 v[4:5], v[8:9]
	s_cbranch_vccnz .LBB0_8
; %bb.1:
	s_load_dwordx2 s[2:3], s[0:1], 0x10
	s_add_u32 s20, s14, 8
	s_addc_u32 s21, s15, 0
	s_add_u32 s22, s12, 8
	s_addc_u32 s23, s13, 0
	s_waitcnt lgkmcnt(0)
	s_add_u32 s24, s2, 8
	v_mov_b64_e32 v[30:31], 0
	s_addc_u32 s25, s3, 0
	s_mov_b64 s[26:27], 1
	v_mov_b64_e32 v[2:3], v[30:31]
	v_mov_b64_e32 v[10:11], v[8:9]
.LBB0_2:                                ; =>This Inner Loop Header: Depth=1
	s_load_dwordx2 s[28:29], s[24:25], 0x0
                                        ; implicit-def: $vgpr4_vgpr5
	s_waitcnt lgkmcnt(0)
	v_or_b32_e32 v7, s29, v11
	v_cmp_ne_u64_e32 vcc, 0, v[6:7]
	s_and_saveexec_b64 s[2:3], vcc
	s_xor_b64 s[30:31], exec, s[2:3]
	s_cbranch_execz .LBB0_4
; %bb.3:                                ;   in Loop: Header=BB0_2 Depth=1
	v_cvt_f32_u32_e32 v1, s28
	v_cvt_f32_u32_e32 v4, s29
	s_sub_u32 s2, 0, s28
	s_subb_u32 s3, 0, s29
	v_fmac_f32_e32 v1, 0x4f800000, v4
	v_rcp_f32_e32 v1, v1
	s_nop 0
	v_mul_f32_e32 v1, 0x5f7ffffc, v1
	v_mul_f32_e32 v4, 0x2f800000, v1
	v_trunc_f32_e32 v4, v4
	v_fmac_f32_e32 v1, 0xcf800000, v4
	v_cvt_u32_f32_e32 v7, v4
	v_cvt_u32_f32_e32 v1, v1
	v_mul_lo_u32 v4, s2, v7
	v_mul_hi_u32 v9, s2, v1
	v_mul_lo_u32 v5, s3, v1
	v_add_u32_e32 v9, v9, v4
	v_mul_lo_u32 v14, s2, v1
	v_add_u32_e32 v9, v9, v5
	v_mul_hi_u32 v4, v1, v14
	v_mul_hi_u32 v13, v1, v9
	v_mul_lo_u32 v12, v1, v9
	v_mov_b32_e32 v5, v6
	v_lshl_add_u64 v[4:5], v[4:5], 0, v[12:13]
	v_mul_hi_u32 v13, v7, v14
	v_mul_lo_u32 v14, v7, v14
	v_add_co_u32_e32 v4, vcc, v4, v14
	v_mul_hi_u32 v12, v7, v9
	s_nop 0
	v_addc_co_u32_e32 v4, vcc, v5, v13, vcc
	v_mov_b32_e32 v5, v6
	s_nop 0
	v_addc_co_u32_e32 v13, vcc, 0, v12, vcc
	v_mul_lo_u32 v12, v7, v9
	v_lshl_add_u64 v[4:5], v[4:5], 0, v[12:13]
	v_add_co_u32_e32 v1, vcc, v1, v4
	v_mul_lo_u32 v12, s2, v1
	s_nop 0
	v_addc_co_u32_e32 v7, vcc, v7, v5, vcc
	v_mul_lo_u32 v4, s2, v7
	v_mul_hi_u32 v5, s2, v1
	v_add_u32_e32 v4, v5, v4
	v_mul_lo_u32 v5, s3, v1
	v_add_u32_e32 v9, v4, v5
	v_mul_hi_u32 v15, v7, v12
	v_mul_lo_u32 v16, v7, v12
	v_mul_hi_u32 v5, v1, v9
	v_mul_lo_u32 v4, v1, v9
	v_mul_hi_u32 v12, v1, v12
	v_mov_b32_e32 v13, v6
	v_lshl_add_u64 v[4:5], v[12:13], 0, v[4:5]
	v_add_co_u32_e32 v4, vcc, v4, v16
	v_mul_hi_u32 v14, v7, v9
	s_nop 0
	v_addc_co_u32_e32 v4, vcc, v5, v15, vcc
	v_mul_lo_u32 v12, v7, v9
	s_nop 0
	v_addc_co_u32_e32 v13, vcc, 0, v14, vcc
	v_mov_b32_e32 v5, v6
	v_lshl_add_u64 v[4:5], v[4:5], 0, v[12:13]
	v_add_co_u32_e32 v1, vcc, v1, v4
	v_mul_hi_u32 v12, v10, v1
	s_nop 0
	v_addc_co_u32_e32 v7, vcc, v7, v5, vcc
	v_mad_u64_u32 v[4:5], s[2:3], v10, v7, 0
	v_mov_b32_e32 v13, v6
	v_lshl_add_u64 v[4:5], v[12:13], 0, v[4:5]
	v_mad_u64_u32 v[14:15], s[2:3], v11, v1, 0
	v_add_co_u32_e32 v1, vcc, v4, v14
	v_mad_u64_u32 v[12:13], s[2:3], v11, v7, 0
	s_nop 0
	v_addc_co_u32_e32 v4, vcc, v5, v15, vcc
	v_mov_b32_e32 v5, v6
	s_nop 0
	v_addc_co_u32_e32 v13, vcc, 0, v13, vcc
	v_lshl_add_u64 v[4:5], v[4:5], 0, v[12:13]
	v_mul_lo_u32 v1, s29, v4
	v_mul_lo_u32 v7, s28, v5
	v_mad_u64_u32 v[12:13], s[2:3], s28, v4, 0
	v_add3_u32 v1, v13, v7, v1
	v_sub_u32_e32 v7, v11, v1
	v_mov_b32_e32 v9, s29
	v_sub_co_u32_e32 v16, vcc, v10, v12
	v_lshl_add_u64 v[14:15], v[4:5], 0, 1
	s_nop 0
	v_subb_co_u32_e64 v7, s[2:3], v7, v9, vcc
	v_subrev_co_u32_e64 v9, s[2:3], s28, v16
	v_subb_co_u32_e32 v1, vcc, v11, v1, vcc
	s_nop 0
	v_subbrev_co_u32_e64 v7, s[2:3], 0, v7, s[2:3]
	v_cmp_le_u32_e64 s[2:3], s29, v7
	v_cmp_le_u32_e32 vcc, s29, v1
	s_nop 0
	v_cndmask_b32_e64 v12, 0, -1, s[2:3]
	v_cmp_le_u32_e64 s[2:3], s28, v9
	s_nop 1
	v_cndmask_b32_e64 v9, 0, -1, s[2:3]
	v_cmp_eq_u32_e64 s[2:3], s29, v7
	s_nop 1
	v_cndmask_b32_e64 v7, v12, v9, s[2:3]
	v_lshl_add_u64 v[12:13], v[4:5], 0, 2
	v_cmp_ne_u32_e64 s[2:3], 0, v7
	v_cndmask_b32_e64 v9, 0, -1, vcc
	v_cmp_le_u32_e32 vcc, s28, v16
	v_cndmask_b32_e64 v7, v15, v13, s[2:3]
	s_nop 0
	v_cndmask_b32_e64 v13, 0, -1, vcc
	v_cmp_eq_u32_e32 vcc, s29, v1
	s_nop 1
	v_cndmask_b32_e32 v1, v9, v13, vcc
	v_cmp_ne_u32_e32 vcc, 0, v1
	v_cndmask_b32_e64 v1, v14, v12, s[2:3]
	s_nop 0
	v_cndmask_b32_e32 v5, v5, v7, vcc
	v_cndmask_b32_e32 v4, v4, v1, vcc
.LBB0_4:                                ;   in Loop: Header=BB0_2 Depth=1
	s_andn2_saveexec_b64 s[2:3], s[30:31]
	s_cbranch_execz .LBB0_6
; %bb.5:                                ;   in Loop: Header=BB0_2 Depth=1
	v_cvt_f32_u32_e32 v1, s28
	s_sub_i32 s30, 0, s28
	v_rcp_iflag_f32_e32 v1, v1
	s_nop 0
	v_mul_f32_e32 v1, 0x4f7ffffe, v1
	v_cvt_u32_f32_e32 v1, v1
	v_mul_lo_u32 v4, s30, v1
	v_mul_hi_u32 v4, v1, v4
	v_add_u32_e32 v1, v1, v4
	v_mul_hi_u32 v1, v10, v1
	v_mul_lo_u32 v4, v1, s28
	v_sub_u32_e32 v4, v10, v4
	v_add_u32_e32 v5, 1, v1
	v_subrev_u32_e32 v7, s28, v4
	v_cmp_le_u32_e32 vcc, s28, v4
	s_nop 1
	v_cndmask_b32_e32 v4, v4, v7, vcc
	v_cndmask_b32_e32 v1, v1, v5, vcc
	v_add_u32_e32 v5, 1, v1
	v_cmp_le_u32_e32 vcc, s28, v4
	s_nop 1
	v_cndmask_b32_e32 v4, v1, v5, vcc
	v_mov_b32_e32 v5, v6
.LBB0_6:                                ;   in Loop: Header=BB0_2 Depth=1
	s_or_b64 exec, exec, s[2:3]
	v_mad_u64_u32 v[12:13], s[2:3], v4, s28, 0
	s_load_dwordx2 s[2:3], s[22:23], 0x0
	s_add_u32 s26, s26, 1
	v_mul_lo_u32 v1, v5, s28
	v_mul_lo_u32 v7, v4, s29
	s_load_dwordx2 s[28:29], s[20:21], 0x0
	s_addc_u32 s27, s27, 0
	v_add3_u32 v1, v13, v7, v1
	v_sub_co_u32_e32 v7, vcc, v10, v12
	s_add_u32 s20, s20, 8
	s_nop 0
	v_subb_co_u32_e32 v1, vcc, v11, v1, vcc
	s_addc_u32 s21, s21, 0
	s_waitcnt lgkmcnt(0)
	v_mul_lo_u32 v9, s2, v1
	v_mul_lo_u32 v10, s3, v7
	v_mad_u64_u32 v[30:31], s[2:3], s2, v7, v[30:31]
	s_add_u32 s22, s22, 8
	v_add3_u32 v31, v10, v31, v9
	s_addc_u32 s23, s23, 0
	v_mov_b64_e32 v[10:11], s[6:7]
	v_mul_lo_u32 v1, s28, v1
	v_mul_lo_u32 v9, s29, v7
	v_mad_u64_u32 v[2:3], s[2:3], s28, v7, v[2:3]
	s_add_u32 s24, s24, 8
	v_cmp_ge_u64_e32 vcc, s[26:27], v[10:11]
	v_add3_u32 v3, v9, v3, v1
	s_addc_u32 s25, s25, 0
	s_cbranch_vccnz .LBB0_8
; %bb.7:                                ;   in Loop: Header=BB0_2 Depth=1
	v_mov_b64_e32 v[10:11], v[4:5]
	s_branch .LBB0_2
.LBB0_8:
	s_load_dwordx2 s[0:1], s[0:1], 0x28
	s_lshl_b64 s[6:7], s[6:7], 3
	s_add_u32 s2, s14, s6
	s_addc_u32 s3, s15, s7
                                        ; implicit-def: $sgpr14_sgpr15
                                        ; implicit-def: $sgpr20
                                        ; implicit-def: $vgpr38
                                        ; implicit-def: $vgpr42
                                        ; implicit-def: $vgpr41
                                        ; implicit-def: $vgpr40
	s_waitcnt lgkmcnt(0)
	v_cmp_gt_u64_e32 vcc, s[0:1], v[4:5]
	v_cmp_le_u64_e64 s[0:1], s[0:1], v[4:5]
	s_and_saveexec_b64 s[22:23], s[0:1]
	s_xor_b64 s[0:1], exec, s[22:23]
; %bb.9:
	s_mov_b32 s14, 0x7c1f07d
	v_mul_hi_u32 v1, v0, s14
	v_mul_u32_u24_e32 v1, 33, v1
	v_sub_u32_e32 v38, v0, v1
	v_add_u32_e32 v42, 33, v38
	v_add_u32_e32 v41, 0x42, v38
	;; [unrolled: 1-line block ×3, first 2 shown]
	s_mov_b32 s20, 0
	s_mov_b64 s[14:15], 0
                                        ; implicit-def: $vgpr0
                                        ; implicit-def: $vgpr30_vgpr31
; %bb.10:
	s_or_saveexec_b64 s[0:1], s[0:1]
	v_mov_b32_e32 v39, s20
	v_mov_b64_e32 v[6:7], s[14:15]
                                        ; implicit-def: $vgpr16
                                        ; implicit-def: $vgpr1
                                        ; implicit-def: $vgpr26
                                        ; implicit-def: $vgpr20
                                        ; implicit-def: $vgpr22
                                        ; implicit-def: $vgpr10
                                        ; implicit-def: $vgpr12
                                        ; implicit-def: $vgpr24
                                        ; implicit-def: $vgpr14
                                        ; implicit-def: $vgpr28
                                        ; implicit-def: $vgpr18
	s_xor_b64 exec, exec, s[0:1]
	s_cbranch_execz .LBB0_12
; %bb.11:
	s_add_u32 s6, s12, s6
	s_addc_u32 s7, s13, s7
	s_load_dwordx2 s[6:7], s[6:7], 0x0
	s_mov_b32 s12, 0x7c1f07d
	s_waitcnt lgkmcnt(0)
	v_mul_lo_u32 v1, s7, v4
	v_mul_lo_u32 v9, s6, v5
	v_mad_u64_u32 v[6:7], s[6:7], s6, v4, 0
	v_add3_u32 v7, v7, v9, v1
	v_mul_hi_u32 v1, v0, s12
	v_mul_u32_u24_e32 v1, 33, v1
	v_sub_u32_e32 v38, v0, v1
	v_mad_u64_u32 v[0:1], s[6:7], s18, v38, 0
	v_mov_b32_e32 v10, v1
	v_mad_u64_u32 v[10:11], s[6:7], s19, v38, v[10:11]
	v_lshl_add_u64 v[6:7], v[6:7], 3, s[8:9]
	v_mov_b32_e32 v1, v10
	v_lshl_add_u64 v[18:19], v[30:31], 3, v[6:7]
	v_add_u32_e32 v42, 33, v38
	v_lshl_add_u64 v[10:11], v[0:1], 3, v[18:19]
	v_mad_u64_u32 v[0:1], s[6:7], s18, v42, 0
	v_mov_b32_e32 v6, v1
	v_mad_u64_u32 v[6:7], s[6:7], s19, v42, v[6:7]
	v_mov_b32_e32 v1, v6
	v_add_u32_e32 v41, 0x42, v38
	v_lshl_add_u64 v[12:13], v[0:1], 3, v[18:19]
	v_mad_u64_u32 v[0:1], s[6:7], s18, v41, 0
	v_mov_b32_e32 v6, v1
	v_mad_u64_u32 v[6:7], s[6:7], s19, v41, v[6:7]
	v_mov_b32_e32 v1, v6
	;; [unrolled: 6-line block ×3, first 2 shown]
	v_add_u32_e32 v9, 0x84, v38
	v_lshl_add_u64 v[22:23], v[0:1], 3, v[18:19]
	global_load_dwordx2 v[6:7], v[10:11], off
	global_load_dwordx2 v[16:17], v[12:13], off
	;; [unrolled: 1-line block ×4, first 2 shown]
	v_mad_u64_u32 v[10:11], s[6:7], s18, v9, 0
	v_mov_b32_e32 v12, v11
	v_mad_u64_u32 v[12:13], s[6:7], s19, v9, v[12:13]
	v_mov_b32_e32 v11, v12
	v_add_u32_e32 v9, 0xa5, v38
	v_lshl_add_u64 v[20:21], v[10:11], 3, v[18:19]
	v_mad_u64_u32 v[10:11], s[6:7], s18, v9, 0
	v_mov_b32_e32 v12, v11
	v_mad_u64_u32 v[12:13], s[6:7], s19, v9, v[12:13]
	v_mov_b32_e32 v11, v12
	v_add_u32_e32 v9, 0xc6, v38
	v_lshl_add_u64 v[22:23], v[10:11], 3, v[18:19]
	v_mad_u64_u32 v[10:11], s[6:7], s18, v9, 0
	v_mov_b32_e32 v12, v11
	v_mad_u64_u32 v[12:13], s[6:7], s19, v9, v[12:13]
	v_mov_b32_e32 v11, v12
	v_add_u32_e32 v9, 0xe7, v38
	v_lshl_add_u64 v[24:25], v[10:11], 3, v[18:19]
	v_mad_u64_u32 v[10:11], s[6:7], s18, v9, 0
	v_mov_b32_e32 v12, v11
	v_mad_u64_u32 v[12:13], s[6:7], s19, v9, v[12:13]
	v_mov_b32_e32 v11, v12
	v_add_u32_e32 v9, 0x108, v38
	v_lshl_add_u64 v[26:27], v[10:11], 3, v[18:19]
	global_load_dwordx2 v[30:31], v[20:21], off
	global_load_dwordx2 v[10:11], v[22:23], off
	;; [unrolled: 1-line block ×4, first 2 shown]
	v_mad_u64_u32 v[20:21], s[6:7], s18, v9, 0
	v_mov_b32_e32 v22, v21
	v_mad_u64_u32 v[22:23], s[6:7], s19, v9, v[22:23]
	v_add_u32_e32 v9, 0x129, v38
	v_mov_b32_e32 v21, v22
	v_mad_u64_u32 v[22:23], s[6:7], s18, v9, 0
	v_mov_b32_e32 v24, v23
	v_mad_u64_u32 v[24:25], s[6:7], s19, v9, v[24:25]
	v_add_u32_e32 v9, 0x14a, v38
	v_mov_b32_e32 v23, v24
	v_mad_u64_u32 v[24:25], s[6:7], s18, v9, 0
	v_mov_b32_e32 v26, v25
	v_mad_u64_u32 v[26:27], s[6:7], s19, v9, v[26:27]
	v_lshl_add_u64 v[20:21], v[20:21], 3, v[18:19]
	v_mov_b32_e32 v25, v26
	v_lshl_add_u64 v[22:23], v[22:23], 3, v[18:19]
	global_load_dwordx2 v[28:29], v[20:21], off
	global_load_dwordx2 v[34:35], v[22:23], off
	v_lshl_add_u64 v[18:19], v[24:25], 3, v[18:19]
	global_load_dwordx2 v[18:19], v[18:19], off
	v_mov_b32_e32 v39, v38
	s_waitcnt vmcnt(9)
	v_mov_b32_e32 v27, v17
	s_waitcnt vmcnt(7)
	v_mov_b32_e32 v26, v15
	v_mov_b32_e32 v15, v0
	s_waitcnt vmcnt(6)
	v_mov_b32_e32 v21, v31
	s_waitcnt vmcnt(5)
	;; [unrolled: 2-line block ×4, first 2 shown]
	v_mov_b32_e32 v23, v33
	v_mov_b32_e32 v11, v30
	v_mov_b32_e32 v13, v32
	s_waitcnt vmcnt(2)
	v_mov_b32_e32 v24, v29
	s_waitcnt vmcnt(1)
	v_mov_b32_e32 v25, v35
	v_mov_b32_e32 v29, v34
.LBB0_12:
	s_or_b64 exec, exec, s[0:1]
	s_mov_b32 s0, 0xaaaaaaab
	v_mul_hi_u32 v0, v8, s0
	v_lshrrev_b32_e32 v0, 1, v0
	v_lshl_add_u32 v0, v0, 1, v0
	v_mov_b32_e32 v17, v27
	v_sub_u32_e32 v43, v8, v0
	s_waitcnt vmcnt(0)
	v_pk_add_f32 v[30:31], v[16:17], v[18:19]
	v_pk_add_f32 v[32:33], v[14:15], v[28:29]
	v_mov_b32_e32 v0, v26
	s_mov_b32 s6, 0xbf75a155
	s_mov_b32 s15, 0xbf4178ce
	v_pk_add_f32 v[8:9], v[26:27], v[18:19] neg_lo:[0,1] neg_hi:[0,1]
	v_pk_add_f32 v[34:35], v[0:1], v[24:25] neg_lo:[0,1] neg_hi:[0,1]
	s_mov_b32 s20, 0x3e903f40
	s_mov_b32 s21, s15
	v_mov_b32_e32 v48, v33
	v_mov_b32_e32 v49, v30
	s_mov_b32 s9, 0xbe11bafb
	s_mov_b32 s8, s6
	;; [unrolled: 1-line block ×4, first 2 shown]
	v_pk_mul_f32 v[46:47], v[34:35], s[20:21]
	v_pk_mul_f32 v[48:49], v[48:49], s[8:9]
	v_mov_b32_e32 v52, v35
	v_mov_b32_e32 v53, v9
	s_mov_b32 s21, s27
	v_pk_add_f32 v[56:57], v[10:11], v[12:13]
	v_pk_fma_f32 v[50:51], v[52:53], s[20:21], v[48:49] neg_lo:[1,0,0] neg_hi:[1,0,0]
	v_pk_add_f32 v[58:59], v[20:21], v[22:23] neg_lo:[0,1] neg_hi:[0,1]
	s_mov_b32 s18, 0x3f575c64
	v_mov_b32_e32 v64, v57
	v_mov_b32_e32 v65, v32
	s_mov_b32 s19, s1
	s_mov_b32 s25, 0x3f68dda4
	v_add_f32_e32 v0, v51, v6
	s_mov_b32 s22, 0xbf0a6770
	v_pk_mul_f32 v[64:65], v[64:65], s[18:19]
	v_mov_b32_e32 v66, v59
	v_mov_b32_e32 v67, v34
	s_mov_b32 s23, s25
	v_add_f32_e32 v0, v50, v0
	v_pk_fma_f32 v[68:69], v[66:67], s[22:23], v[64:65] neg_lo:[1,0,0] neg_hi:[1,0,0]
	s_mov_b32 s13, 0xbf68dda4
	v_add_f32_e32 v0, v69, v0
	v_add_f32_e32 v80, v68, v0
	;; [unrolled: 1-line block ×4, first 2 shown]
	v_mov_b32_e32 v36, v33
	v_mov_b32_e32 v37, v35
	s_mov_b32 s12, s1
	v_add_f32_e32 v0, v14, v0
	v_pk_mul_f32 v[44:45], v[36:37], s[12:13]
	s_mov_b32 s7, 0xbf27a4f4
	v_mov_b32_e32 v50, v32
	v_mov_b32_e32 v51, v34
	s_mov_b32 s26, s9
	v_add_f32_e32 v70, v11, v0
	v_mul_f32_e32 v71, 0x3f575c64, v30
	v_mul_f32_e32 v73, 0xbf0a6770, v9
	v_mov_b32_e32 v72, v10
	v_mov_b32_e32 v17, v44
	v_pk_mul_f32 v[54:55], v[50:51], s[26:27]
	v_mov_b32_e32 v60, v57
	v_mov_b32_e32 v61, v59
	s_mov_b32 s14, s7
	v_pk_add_f32 v[72:73], v[70:71], v[72:73] neg_lo:[0,1] neg_hi:[0,1]
	v_pk_add_f32 v[74:75], v[70:71], v[10:11]
	v_pk_fma_f32 v[36:37], v[36:37], s[12:13], v[16:17] neg_lo:[1,0,0] neg_hi:[1,0,0]
	v_mov_b32_e32 v17, v54
	v_pk_mul_f32 v[62:63], v[60:61], s[14:15]
	v_pk_fma_f32 v[64:65], v[66:67], s[22:23], v[64:65]
	v_mov_b32_e32 v66, v56
	v_mov_b32_e32 v67, v58
	s_mov_b32 s29, 0xbe903f40
	s_mov_b32 s28, s6
	v_mov_b32_e32 v75, v73
	v_mov_b32_e32 v72, v12
	;; [unrolled: 1-line block ×3, first 2 shown]
	v_pk_fma_f32 v[50:51], v[50:51], s[26:27], v[16:17] neg_lo:[1,0,0] neg_hi:[1,0,0]
	v_mov_b32_e32 v17, v62
	v_pk_mul_f32 v[68:69], v[66:67], s[28:29]
	v_pk_add_f32 v[72:73], v[72:73], v[74:75]
	v_mov_b32_e32 v36, v13
	v_pk_fma_f32 v[60:61], v[60:61], s[14:15], v[16:17] neg_lo:[1,0,0] neg_hi:[1,0,0]
	v_mov_b32_e32 v17, v68
	v_pk_add_f32 v[36:37], v[36:37], v[72:73]
	v_mov_b32_e32 v50, v28
	v_pk_fma_f32 v[66:67], v[66:67], s[28:29], v[16:17] neg_lo:[1,0,0] neg_hi:[1,0,0]
	v_pk_add_f32 v[36:37], v[50:51], v[36:37]
	v_mov_b32_e32 v60, v29
	v_mul_u32_u24_e32 v70, 0x16b, v43
	v_pk_add_f32 v[36:37], v[60:61], v[36:37]
	v_mov_b32_e32 v66, v18
	v_lshl_add_u32 v17, v70, 2, 0
	v_pk_add_f32 v[36:37], v[66:67], v[36:37]
	v_mad_u32_u24 v50, v38, 44, v17
	ds_write2_b32 v50, v36, v37 offset1:1
	v_mov_b32_e32 v36, v9
	v_mov_b32_e32 v37, v30
	s_mov_b32 s0, s13
	v_pk_mul_f32 v[36:37], v[36:37], s[0:1]
	s_mov_b32 s30, 0x3f7d64f0
	v_sub_f32_e32 v0, v37, v36
	v_add_f32_e32 v0, v0, v6
	v_pk_fma_f32 v[60:61], v[32:33], s[6:7], v[46:47] neg_lo:[0,0,1] neg_hi:[0,0,1]
	s_mov_b32 s19, s9
	s_mov_b32 s31, 0x3f0a6770
	v_mov_b32_e32 v66, v58
	v_mov_b32_e32 v67, v56
	s_mov_b32 s34, s15
	s_mov_b32 s35, s7
	v_add_f32_e32 v0, v61, v0
	s_mov_b32 s42, s31
	s_mov_b32 s43, s30
	v_pk_mul_f32 v[72:73], v[66:67], s[34:35]
	v_pk_mul_f32 v[74:75], v[56:57], s[18:19]
	v_add_f32_e32 v60, v60, v0
	v_mov_b32_e32 v0, v73
	v_pk_fma_f32 v[76:77], v[58:59], s[42:43], v[74:75] neg_lo:[1,0,0] neg_hi:[1,0,0]
	v_mov_b32_e32 v61, v72
	v_pk_fma_f32 v[72:73], v[66:67], s[34:35], v[0:1]
	v_mov_b32_e32 v0, v77
	v_pk_add_f32 v[78:79], v[0:1], v[60:61]
	v_pk_fma_f32 v[60:61], v[66:67], s[34:35], v[60:61] neg_lo:[0,0,1] neg_hi:[0,0,1]
	v_mov_b32_e32 v77, v80
	v_mov_b32_e32 v79, v61
	s_mov_b32 s34, s7
	s_mov_b32 s35, s6
	v_pk_add_f32 v[60:61], v[78:79], v[76:77]
	v_pk_mul_f32 v[30:31], v[30:31], s[34:35] op_sel_hi:[0,1]
	s_mov_b32 s38, s15
	s_mov_b32 s39, s29
	;; [unrolled: 1-line block ×4, first 2 shown]
	ds_write2_b32 v50, v60, v61 offset0:2 offset1:3
	v_pk_fma_f32 v[60:61], v[8:9], s[38:39], v[30:31] op_sel:[1,0,0] neg_lo:[1,0,0] neg_hi:[1,0,0]
	v_pk_mul_f32 v[66:67], v[32:33], s[36:37] op_sel:[1,0]
	s_mov_b32 s19, s7
	v_fmamk_f32 v0, v9, 0xbf0a6770, v71
	v_pk_fma_f32 v[8:9], v[8:9], s[38:39], v[30:31] op_sel:[1,0,0]
	v_pk_add_f32 v[60:61], v[60:61], v[6:7] op_sel_hi:[1,0]
	v_pk_fma_f32 v[76:77], v[34:35], s[30:31], v[66:67] op_sel:[1,0,0] neg_lo:[1,0,0] neg_hi:[1,0,0]
	v_pk_fma_f32 v[46:47], v[32:33], s[6:7], v[46:47]
	v_pk_mul_f32 v[32:33], v[32:33], s[18:19] op_sel_hi:[0,1]
	s_mov_b32 s23, s15
	v_pk_add_f32 v[8:9], v[8:9], v[6:7] op_sel_hi:[1,0]
	v_pk_fma_f32 v[30:31], v[34:35], s[30:31], v[66:67] op_sel:[1,0,0]
	v_pk_add_f32 v[60:61], v[76:77], v[60:61]
	v_pk_fma_f32 v[76:77], v[34:35], s[22:23], v[32:33] op_sel_hi:[0,1,1] neg_lo:[1,0,0] neg_hi:[1,0,0]
	s_mov_b32 s7, s1
	v_pk_add_f32 v[8:9], v[30:31], v[8:9]
	v_add_f32_e32 v30, v45, v44
	v_add_f32_e32 v0, v0, v6
	v_pk_add_f32 v[60:61], v[76:77], v[60:61]
	s_mov_b32 s24, s29
	v_pk_mul_f32 v[76:77], v[56:57], s[6:7] op_sel:[1,0]
	s_mov_b32 s8, s1
	v_add_f32_e32 v0, v30, v0
	v_add_f32_e32 v30, v55, v54
	v_pk_fma_f32 v[32:33], v[34:35], s[22:23], v[32:33] op_sel_hi:[0,1,1]
	v_pk_mul_f32 v[56:57], v[56:57], s[8:9] op_sel_hi:[0,1]
	s_mov_b32 s40, s25
	s_mov_b32 s41, s27
	v_add_f32_e32 v0, v30, v0
	v_add_f32_e32 v30, v63, v62
	v_pk_add_f32 v[8:9], v[32:33], v[8:9]
	v_pk_fma_f32 v[32:33], v[58:59], s[24:25], v[76:77] op_sel:[1,0,0]
	v_add_f32_e32 v0, v30, v0
	v_pk_mul_f32 v[30:31], v[52:53], s[20:21]
	v_pk_add_f32 v[8:9], v[32:33], v[8:9]
	v_pk_fma_f32 v[32:33], v[58:59], s[40:41], v[56:57] op_sel_hi:[0,1,1]
	v_add_f32_e32 v30, v69, v68
	v_pk_add_f32 v[8:9], v[32:33], v[8:9]
	v_add_f32_e32 v30, v30, v0
	v_mov_b32_e32 v0, v9
	ds_write2_b32 v50, v9, v8 offset0:6 offset1:7
	v_mov_b32_e32 v8, v31
	v_mov_b32_e32 v9, v36
	;; [unrolled: 1-line block ×3, first 2 shown]
	v_pk_fma_f32 v[34:35], v[52:53], s[20:21], v[48:49]
	v_pk_add_f32 v[8:9], v[8:9], v[36:37]
	v_mov_b32_e32 v35, v47
	v_pk_add_f32 v[8:9], v[8:9], v[6:7] op_sel_hi:[1,0]
	v_pk_fma_f32 v[44:45], v[58:59], s[42:43], v[74:75]
	v_pk_add_f32 v[8:9], v[34:35], v[8:9]
	v_mov_b32_e32 v32, v65
	v_mov_b32_e32 v33, v46
	v_pk_fma_f32 v[78:79], v[58:59], s[24:25], v[76:77] op_sel:[1,0,0] neg_lo:[1,0,0] neg_hi:[1,0,0]
	v_pk_add_f32 v[8:9], v[32:33], v[8:9]
	v_mov_b32_e32 v65, v45
	v_pk_add_f32 v[60:61], v[78:79], v[60:61]
	v_pk_fma_f32 v[78:79], v[58:59], s[40:41], v[56:57] op_sel_hi:[0,1,1] neg_lo:[1,0,0] neg_hi:[1,0,0]
	v_pk_add_f32 v[8:9], v[64:65], v[8:9]
	v_mov_b32_e32 v73, v44
	v_pk_add_f32 v[60:61], v[78:79], v[60:61]
	v_pk_add_f32 v[8:9], v[72:73], v[8:9]
	s_movk_i32 s0, 0xffd8
	ds_write2_b32 v50, v60, v61 offset0:4 offset1:5
	s_load_dwordx2 s[2:3], s[2:3], 0x0
	ds_write2_b32 v50, v8, v9 offset0:8 offset1:9
	ds_write_b32 v50, v30 offset:40
	v_mad_i32_i24 v8, v38, s0, v50
	v_lshl_add_u32 v43, v38, 2, v17
	v_add_u32_e32 v51, 0x400, v8
	s_waitcnt lgkmcnt(0)
	s_barrier
	ds_read2_b32 v[36:37], v8 offset0:121 offset1:154
	ds_read2_b32 v[32:33], v8 offset0:187 offset1:242
	v_lshl_add_u32 v44, v42, 2, v17
	ds_read2_b32 v[34:35], v51 offset0:19 offset1:52
	v_lshl_add_u32 v45, v41, 2, v17
	ds_read_b32 v49, v43
	ds_read_b32 v48, v44
	;; [unrolled: 1-line block ×3, first 2 shown]
	v_cmp_gt_u32_e64 s[0:1], 22, v38
	v_lshlrev_b32_e32 v17, 2, v40
	v_lshlrev_b32_e32 v46, 2, v70
	s_and_saveexec_b64 s[42:43], s[0:1]
	s_cbranch_execz .LBB0_14
; %bb.13:
	v_add3_u32 v0, 0, v17, v46
	ds_read_b32 v9, v0
	v_add_u32_e32 v0, 0x200, v8
	ds_read2_b32 v[30:31], v0 offset0:92 offset1:213
.LBB0_14:
	s_or_b64 exec, exec, s[42:43]
	v_mov_b32_e32 v52, v25
	v_mov_b32_e32 v53, v15
	;; [unrolled: 1-line block ×4, first 2 shown]
	v_pk_add_f32 v[56:57], v[52:53], v[54:55]
	v_pk_add_f32 v[52:53], v[52:53], v[54:55] neg_lo:[0,1] neg_hi:[0,1]
	v_mov_b32_e32 v54, v56
	v_mov_b32_e32 v55, v53
	v_add_f32_e32 v0, v27, v7
	v_pk_mul_f32 v[58:59], v[54:55], s[12:13]
	v_add_f32_e32 v0, v1, v0
	v_mov_b32_e32 v1, v58
	v_sub_f32_e32 v72, v58, v59
	v_mov_b32_e32 v58, v26
	v_mov_b32_e32 v59, v14
	v_mov_b32_e32 v14, v24
	v_mov_b32_e32 v15, v28
	v_pk_add_f32 v[28:29], v[58:59], v[14:15]
	v_pk_add_f32 v[14:15], v[58:59], v[14:15] neg_lo:[0,1] neg_hi:[0,1]
	v_mov_b32_e32 v58, v28
	v_mov_b32_e32 v59, v15
	v_pk_mul_f32 v[60:61], v[58:59], s[26:27]
	v_pk_fma_f32 v[54:55], v[54:55], s[12:13], v[0:1]
	v_mov_b32_e32 v1, v60
	v_sub_f32_e32 v73, v60, v61
	v_mov_b32_e32 v60, v21
	v_mov_b32_e32 v61, v11
	;; [unrolled: 1-line block ×4, first 2 shown]
	v_pk_add_f32 v[64:65], v[60:61], v[62:63]
	v_pk_add_f32 v[60:61], v[60:61], v[62:63] neg_lo:[0,1] neg_hi:[0,1]
	v_mov_b32_e32 v62, v64
	v_mov_b32_e32 v63, v61
	v_pk_mul_f32 v[66:67], v[62:63], s[14:15]
	v_pk_fma_f32 v[58:59], v[58:59], s[26:27], v[0:1]
	v_mov_b32_e32 v1, v66
	v_pk_fma_f32 v[62:63], v[62:63], s[14:15], v[0:1]
	v_mov_b32_e32 v1, v19
	v_sub_f32_e32 v16, v16, v18
	v_pk_add_f32 v[26:27], v[26:27], v[0:1]
	v_mov_b32_e32 v1, 0x3f575c64
	v_mov_b32_e32 v0, v21
	v_mul_f32_e32 v18, 0xbf0a6770, v16
	v_pk_add_f32 v[68:69], v[0:1], v[26:27]
	v_pk_mul_f32 v[0:1], v[0:1], v[26:27]
	v_mov_b32_e32 v21, v18
	v_mov_b32_e32 v69, v1
	v_pk_add_f32 v[68:69], v[20:21], v[68:69]
	v_mov_b32_e32 v70, v22
	v_mov_b32_e32 v71, v7
	v_fmac_f32_e32 v1, 0x3f0a6770, v16
	v_pk_add_f32 v[68:69], v[70:71], v[68:69]
	v_mov_b32_e32 v54, v23
	v_add_f32_e32 v0, v1, v7
	v_pk_add_f32 v[54:55], v[54:55], v[68:69]
	v_mov_b32_e32 v58, v24
	v_add_f32_e32 v0, v72, v0
	v_mov_b32_e32 v21, v10
	v_mov_b32_e32 v23, v12
	v_pk_add_f32 v[54:55], v[58:59], v[54:55]
	v_mov_b32_e32 v62, v25
	v_add_f32_e32 v0, v73, v0
	v_sub_f32_e32 v1, v66, v67
	v_pk_add_f32 v[12:13], v[20:21], v[22:23]
	v_pk_add_f32 v[20:21], v[20:21], v[22:23] neg_lo:[0,1] neg_hi:[0,1]
	v_pk_add_f32 v[24:25], v[62:63], v[54:55]
	v_add_f32_e32 v54, v1, v0
	v_mov_b32_e32 v0, v12
	v_mov_b32_e32 v1, v21
	v_pk_mul_f32 v[10:11], v[0:1], s[28:29]
	s_mov_b32 s26, s13
	v_mov_b32_e32 v23, v10
	v_pk_fma_f32 v[0:1], v[0:1], s[28:29], v[22:23]
	s_mov_b32 s12, s15
	v_mov_b32_e32 v0, v19
	v_pk_add_f32 v[18:19], v[0:1], v[24:25]
	v_sub_f32_e32 v0, v10, v11
	v_pk_mul_f32 v[10:11], v[16:17], s[26:27] op_sel_hi:[0,1]
	s_mov_b32 s13, s20
	v_pk_mul_f32 v[22:23], v[52:53], s[12:13] op_sel:[1,0]
	s_mov_b32 s21, s25
	v_pk_fma_f32 v[62:63], v[26:27], s[8:9], v[10:11] op_sel:[1,0,0]
	v_add_f32_e32 v0, v0, v54
	v_pk_fma_f32 v[24:25], v[56:57], s[34:35], v[22:23] op_sel_hi:[0,1,1]
	v_pk_mul_f32 v[54:55], v[14:15], s[20:21] op_sel:[1,0]
	v_pk_add_f32 v[62:63], v[62:63], v[6:7] op_sel:[0,1]
	v_pk_fma_f32 v[58:59], v[28:29], s[6:7], v[54:55] op_sel_hi:[0,1,1]
	v_pk_add_f32 v[24:25], v[24:25], v[62:63]
	s_mov_b32 s12, s30
	s_mov_b32 s13, s22
	v_pk_fma_f32 v[10:11], v[26:27], s[8:9], v[10:11] op_sel:[1,0,0] neg_lo:[0,0,1] neg_hi:[0,0,1]
	v_pk_add_f32 v[24:25], v[58:59], v[24:25]
	v_pk_mul_f32 v[58:59], v[60:61], s[12:13] op_sel:[1,0]
	v_pk_fma_f32 v[22:23], v[56:57], s[34:35], v[22:23] op_sel_hi:[0,1,1] neg_lo:[0,0,1] neg_hi:[0,0,1]
	v_pk_add_f32 v[10:11], v[10:11], v[6:7] op_sel:[0,1]
	v_pk_fma_f32 v[62:63], v[64:65], s[36:37], v[58:59] op_sel_hi:[0,1,1]
	s_mov_b32 s14, s31
	v_pk_fma_f32 v[54:55], v[28:29], s[6:7], v[54:55] op_sel_hi:[0,1,1] neg_lo:[0,0,1] neg_hi:[0,0,1]
	v_pk_add_f32 v[10:11], v[22:23], v[10:11]
	v_pk_add_f32 v[24:25], v[62:63], v[24:25]
	v_pk_mul_f32 v[62:63], v[20:21], s[14:15] op_sel:[1,0]
	v_pk_add_f32 v[10:11], v[54:55], v[10:11]
	v_pk_fma_f32 v[22:23], v[64:65], s[36:37], v[58:59] op_sel_hi:[0,1,1] neg_lo:[0,0,1] neg_hi:[0,0,1]
	v_pk_add_f32 v[10:11], v[22:23], v[10:11]
	v_pk_fma_f32 v[22:23], v[12:13], s[18:19], v[62:63] op_sel_hi:[0,1,1] neg_lo:[0,0,1] neg_hi:[0,0,1]
	v_pk_add_f32 v[10:11], v[22:23], v[10:11]
	v_pk_mul_f32 v[22:23], v[16:17], s[38:39] op_sel_hi:[0,1]
	v_pk_fma_f32 v[66:67], v[12:13], s[18:19], v[62:63] op_sel_hi:[0,1,1]
	v_pk_mul_f32 v[52:53], v[52:53], s[30:31] op_sel:[1,0]
	v_pk_fma_f32 v[62:63], v[26:27], s[34:35], v[22:23] op_sel:[1,0,0]
	v_pk_fma_f32 v[54:55], v[56:57], s[36:37], v[52:53] op_sel_hi:[0,1,1]
	v_pk_mul_f32 v[14:15], v[14:15], s[22:23] op_sel:[1,0]
	v_pk_add_f32 v[62:63], v[62:63], v[6:7] op_sel:[0,1]
	v_pk_fma_f32 v[22:23], v[26:27], s[34:35], v[22:23] op_sel:[1,0,0] neg_lo:[0,0,1] neg_hi:[0,0,1]
	v_pk_fma_f32 v[58:59], v[28:29], s[18:19], v[14:15] op_sel_hi:[0,1,1]
	v_pk_add_f32 v[54:55], v[54:55], v[62:63]
	v_pk_fma_f32 v[52:53], v[56:57], s[36:37], v[52:53] op_sel_hi:[0,1,1] neg_lo:[0,0,1] neg_hi:[0,0,1]
	v_pk_add_f32 v[6:7], v[22:23], v[6:7] op_sel:[0,1]
	v_pk_add_f32 v[54:55], v[58:59], v[54:55]
	v_pk_mul_f32 v[58:59], v[60:61], s[24:25] op_sel:[1,0]
	v_pk_fma_f32 v[14:15], v[28:29], s[18:19], v[14:15] op_sel_hi:[0,1,1] neg_lo:[0,0,1] neg_hi:[0,0,1]
	v_pk_add_f32 v[6:7], v[52:53], v[6:7]
	v_pk_fma_f32 v[60:61], v[64:65], s[6:7], v[58:59] op_sel_hi:[0,1,1]
	v_pk_mul_f32 v[20:21], v[20:21], s[40:41] op_sel:[1,0]
	v_pk_add_f32 v[6:7], v[14:15], v[6:7]
	v_pk_fma_f32 v[14:15], v[64:65], s[6:7], v[58:59] op_sel_hi:[0,1,1] neg_lo:[0,0,1] neg_hi:[0,0,1]
	v_pk_add_f32 v[54:55], v[60:61], v[54:55]
	v_pk_fma_f32 v[60:61], v[12:13], s[8:9], v[20:21] op_sel_hi:[0,1,1]
	v_pk_add_f32 v[6:7], v[14:15], v[6:7]
	v_pk_fma_f32 v[12:13], v[12:13], s[8:9], v[20:21] op_sel_hi:[0,1,1] neg_lo:[0,0,1] neg_hi:[0,0,1]
	v_pk_add_f32 v[6:7], v[12:13], v[6:7]
	v_pk_add_f32 v[24:25], v[66:67], v[24:25]
	;; [unrolled: 1-line block ×3, first 2 shown]
	s_waitcnt lgkmcnt(0)
	s_barrier
	ds_write2_b32 v50, v18, v19 offset1:1
	ds_write2_b32 v50, v24, v25 offset0:2 offset1:3
	ds_write2_b32 v50, v54, v55 offset0:4 offset1:5
	;; [unrolled: 1-line block ×4, first 2 shown]
	ds_write_b32 v50, v0 offset:40
	s_waitcnt lgkmcnt(0)
	s_barrier
	ds_read2_b32 v[14:15], v8 offset0:121 offset1:154
	ds_read2_b32 v[6:7], v8 offset0:187 offset1:242
	ds_read2_b32 v[12:13], v51 offset0:19 offset1:52
	ds_read_b32 v23, v43
	ds_read_b32 v21, v44
	;; [unrolled: 1-line block ×3, first 2 shown]
	v_mov_b32_e32 v1, v10
	s_and_saveexec_b64 s[6:7], s[0:1]
	s_cbranch_execz .LBB0_16
; %bb.15:
	v_add3_u32 v0, 0, v17, v46
	ds_read_b32 v10, v0
	v_add_u32_e32 v0, 0x200, v8
	ds_read2_b32 v[0:1], v0 offset0:92 offset1:213
.LBB0_16:
	s_or_b64 exec, exec, s[6:7]
	s_movk_i32 s6, 0x75
	v_mul_lo_u16_sdwa v16, v38, s6 dst_sel:DWORD dst_unused:UNUSED_PAD src0_sel:BYTE_0 src1_sel:DWORD
	v_sub_u16_sdwa v18, v38, v16 dst_sel:DWORD dst_unused:UNUSED_PAD src0_sel:DWORD src1_sel:BYTE_1
	v_mul_lo_u16_sdwa v19, v42, s6 dst_sel:DWORD dst_unused:UNUSED_PAD src0_sel:BYTE_0 src1_sel:DWORD
	v_lshrrev_b16_e32 v18, 1, v18
	v_sub_u16_sdwa v20, v42, v19 dst_sel:DWORD dst_unused:UNUSED_PAD src0_sel:DWORD src1_sel:BYTE_1
	v_and_b32_e32 v18, 0x7f, v18
	v_lshrrev_b16_e32 v20, 1, v20
	v_add_u16_sdwa v16, v18, v16 dst_sel:DWORD dst_unused:UNUSED_PAD src0_sel:DWORD src1_sel:BYTE_1
	v_and_b32_e32 v20, 0x7f, v20
	v_lshrrev_b16_e32 v66, 3, v16
	v_add_u16_sdwa v19, v20, v19 dst_sel:DWORD dst_unused:UNUSED_PAD src0_sel:DWORD src1_sel:BYTE_1
	v_mul_lo_u16_e32 v16, 11, v66
	v_lshrrev_b16_e32 v68, 3, v19
	v_sub_u16_e32 v67, v38, v16
	v_mov_b32_e32 v16, 4
	v_mul_lo_u16_e32 v19, 11, v68
	v_lshlrev_b32_sdwa v18, v16, v67 dst_sel:DWORD dst_unused:UNUSED_PAD src0_sel:DWORD src1_sel:BYTE_0
	v_sub_u16_e32 v42, v42, v19
	v_lshlrev_b32_sdwa v19, v16, v42 dst_sel:DWORD dst_unused:UNUSED_PAD src0_sel:DWORD src1_sel:BYTE_0
	global_load_dwordx4 v[50:53], v18, s[4:5]
	global_load_dwordx4 v[54:57], v19, s[4:5]
	v_mul_lo_u16_sdwa v18, v41, s6 dst_sel:DWORD dst_unused:UNUSED_PAD src0_sel:BYTE_0 src1_sel:DWORD
	v_sub_u16_sdwa v19, v41, v18 dst_sel:DWORD dst_unused:UNUSED_PAD src0_sel:DWORD src1_sel:BYTE_1
	v_lshrrev_b16_e32 v19, 1, v19
	v_and_b32_e32 v19, 0x7f, v19
	v_add_u16_sdwa v18, v19, v18 dst_sel:DWORD dst_unused:UNUSED_PAD src0_sel:DWORD src1_sel:BYTE_1
	v_mul_lo_u16_sdwa v19, v40, s6 dst_sel:DWORD dst_unused:UNUSED_PAD src0_sel:BYTE_0 src1_sel:DWORD
	v_sub_u16_sdwa v20, v40, v19 dst_sel:DWORD dst_unused:UNUSED_PAD src0_sel:DWORD src1_sel:BYTE_1
	v_lshrrev_b16_e32 v69, 3, v18
	v_lshrrev_b16_e32 v20, 1, v20
	v_mul_lo_u16_e32 v18, 11, v69
	v_and_b32_e32 v20, 0x7f, v20
	v_sub_u16_e32 v41, v41, v18
	v_add_u16_sdwa v19, v20, v19 dst_sel:DWORD dst_unused:UNUSED_PAD src0_sel:DWORD src1_sel:BYTE_1
	v_lshlrev_b32_sdwa v18, v16, v41 dst_sel:DWORD dst_unused:UNUSED_PAD src0_sel:DWORD src1_sel:BYTE_0
	v_lshrrev_b16_e32 v25, 3, v19
	global_load_dwordx4 v[58:61], v18, s[4:5]
	v_mul_lo_u16_e32 v18, 11, v25
	v_sub_u16_e32 v27, v40, v18
	v_lshlrev_b32_sdwa v16, v16, v27 dst_sel:DWORD dst_unused:UNUSED_PAD src0_sel:DWORD src1_sel:BYTE_0
	global_load_dwordx4 v[62:65], v16, s[4:5]
	s_movk_i32 s8, 0x84
	s_waitcnt lgkmcnt(0)
	s_barrier
	s_waitcnt vmcnt(3)
	v_mul_f32_e32 v26, v14, v51
	v_mul_f32_e32 v40, v7, v53
	;; [unrolled: 1-line block ×4, first 2 shown]
	s_waitcnt vmcnt(2)
	v_mul_f32_e32 v51, v15, v55
	v_mul_f32_e32 v19, v37, v55
	;; [unrolled: 1-line block ×4, first 2 shown]
	v_fma_f32 v36, v36, v50, -v26
	v_fma_f32 v33, v33, v52, -v40
	v_fmac_f32_e32 v22, v14, v50
	v_fmac_f32_e32 v24, v7, v52
	v_fma_f32 v26, v37, v54, -v51
	v_fmac_f32_e32 v19, v15, v54
	v_fma_f32 v15, v34, v56, -v53
	v_fmac_f32_e32 v20, v12, v56
	s_waitcnt vmcnt(1)
	v_mul_f32_e32 v55, v6, v59
	v_mul_f32_e32 v16, v32, v59
	;; [unrolled: 1-line block ×4, first 2 shown]
	s_waitcnt vmcnt(0)
	v_mul_f32_e32 v28, v30, v63
	v_mul_f32_e32 v29, v31, v65
	;; [unrolled: 1-line block ×4, first 2 shown]
	v_fma_f32 v12, v32, v58, -v55
	v_fmac_f32_e32 v28, v0, v62
	v_fmac_f32_e32 v29, v1, v64
	v_add_f32_e32 v0, v49, v36
	v_add_f32_e32 v1, v36, v33
	v_fma_f32 v14, v35, v60, -v57
	v_fmac_f32_e32 v18, v13, v60
	v_fma_f32 v7, v31, v64, -v61
	v_sub_f32_e32 v13, v22, v24
	v_add_f32_e32 v31, v26, v15
	v_add_f32_e32 v34, v47, v12
	;; [unrolled: 1-line block ×3, first 2 shown]
	v_fmac_f32_e32 v49, -0.5, v1
	v_mov_b32_e32 v0, 2
	v_fmac_f32_e32 v16, v6, v58
	v_fma_f32 v6, v30, v62, -v59
	v_add_f32_e32 v30, v48, v26
	v_fmac_f32_e32 v48, -0.5, v31
	v_add_f32_e32 v31, v34, v14
	v_fmamk_f32 v34, v13, 0x3f5db3d7, v49
	v_fmac_f32_e32 v49, 0xbf5db3d7, v13
	v_mad_u32_u24 v1, v66, s8, 0
	v_lshlrev_b32_sdwa v13, v0, v67 dst_sel:DWORD dst_unused:UNUSED_PAD src0_sel:DWORD src1_sel:BYTE_0
	v_add3_u32 v1, v1, v13, v46
	v_sub_f32_e32 v32, v19, v20
	v_add_f32_e32 v35, v12, v14
	ds_write2_b32 v1, v40, v34 offset1:11
	ds_write_b32 v1, v49 offset:88
	v_mad_u32_u24 v13, v68, s8, 0
	v_lshlrev_b32_sdwa v34, v0, v42 dst_sel:DWORD dst_unused:UNUSED_PAD src0_sel:DWORD src1_sel:BYTE_0
	v_add_f32_e32 v30, v30, v15
	v_fmac_f32_e32 v47, -0.5, v35
	v_fmamk_f32 v35, v32, 0x3f5db3d7, v48
	v_add3_u32 v13, v13, v34, v46
	v_sub_f32_e32 v37, v16, v18
	v_fmac_f32_e32 v48, 0xbf5db3d7, v32
	ds_write2_b32 v13, v30, v35 offset1:11
	ds_write_b32 v13, v48 offset:88
	v_mad_u32_u24 v30, v69, s8, 0
	v_lshlrev_b32_sdwa v34, v0, v41 dst_sel:DWORD dst_unused:UNUSED_PAD src0_sel:DWORD src1_sel:BYTE_0
	v_fmamk_f32 v32, v37, 0x3f5db3d7, v47
	v_add3_u32 v30, v30, v34, v46
	v_fmac_f32_e32 v47, 0xbf5db3d7, v37
	ds_write2_b32 v30, v31, v32 offset1:11
	ds_write_b32 v30, v47 offset:88
	s_and_saveexec_b64 s[6:7], s[0:1]
	s_cbranch_execz .LBB0_18
; %bb.17:
	v_add_f32_e32 v31, v6, v7
	v_fma_f32 v31, -0.5, v31, v9
	v_sub_f32_e32 v32, v28, v29
	v_fmamk_f32 v34, v32, 0xbf5db3d7, v31
	v_fmac_f32_e32 v31, 0x3f5db3d7, v32
	v_add_f32_e32 v9, v9, v6
	v_mad_u32_u24 v32, v25, s8, 0
	v_lshlrev_b32_sdwa v0, v0, v27 dst_sel:DWORD dst_unused:UNUSED_PAD src0_sel:DWORD src1_sel:BYTE_0
	v_add_f32_e32 v9, v9, v7
	v_add3_u32 v0, v32, v0, v46
	ds_write2_b32 v0, v9, v31 offset1:11
	ds_write_b32 v0, v34 offset:88
.LBB0_18:
	s_or_b64 exec, exec, s[6:7]
	v_add_f32_e32 v0, v23, v22
	v_add_f32_e32 v31, v0, v24
	v_add_f32_e32 v0, v22, v24
	v_fmac_f32_e32 v23, -0.5, v0
	v_sub_f32_e32 v0, v36, v33
	v_fmamk_f32 v34, v0, 0xbf5db3d7, v23
	v_fmac_f32_e32 v23, 0x3f5db3d7, v0
	v_add_f32_e32 v0, v21, v19
	v_add_f32_e32 v35, v0, v20
	v_add_f32_e32 v0, v19, v20
	v_fmac_f32_e32 v21, -0.5, v0
	v_sub_f32_e32 v0, v26, v15
	v_fmamk_f32 v15, v0, 0xbf5db3d7, v21
	v_fmac_f32_e32 v21, 0x3f5db3d7, v0
	v_add_f32_e32 v0, v11, v16
	v_add_f32_e32 v36, v0, v18
	v_add_f32_e32 v0, v16, v18
	v_fmac_f32_e32 v11, -0.5, v0
	v_sub_f32_e32 v0, v12, v14
	v_fmamk_f32 v12, v0, 0xbf5db3d7, v11
	v_fmac_f32_e32 v11, 0x3f5db3d7, v0
	s_waitcnt lgkmcnt(0)
	s_barrier
	ds_read_b32 v0, v43
	v_add3_u32 v9, 0, v17, v46
	ds_read_b32 v24, v45
	ds_read_b32 v26, v9
	ds_read2_b32 v[16:17], v8 offset0:132 offset1:165
	ds_read2_b32 v[18:19], v8 offset0:198 offset1:231
	v_add_u32_e32 v14, 0x400, v8
	ds_read2_b32 v[32:33], v14 offset0:8 offset1:41
	ds_read_b32 v20, v44
	ds_read_b32 v22, v8 offset:1320
	s_waitcnt lgkmcnt(0)
	s_barrier
	ds_write2_b32 v1, v31, v34 offset1:11
	ds_write_b32 v1, v23 offset:88
	ds_write2_b32 v13, v35, v15 offset1:11
	ds_write_b32 v13, v21 offset:88
	;; [unrolled: 2-line block ×3, first 2 shown]
	s_and_saveexec_b64 s[6:7], s[0:1]
	s_cbranch_execz .LBB0_20
; %bb.19:
	v_add_f32_e32 v11, v28, v29
	v_add_f32_e32 v1, v10, v28
	v_fmac_f32_e32 v10, -0.5, v11
	v_sub_f32_e32 v6, v6, v7
	s_movk_i32 s0, 0x84
	v_mov_b32_e32 v11, 2
	v_fmamk_f32 v7, v6, 0xbf5db3d7, v10
	v_fmamk_f32 v6, v6, 0x3f5db3d7, v10
	v_mad_u32_u24 v10, v25, s0, 0
	v_lshlrev_b32_sdwa v11, v11, v27 dst_sel:DWORD dst_unused:UNUSED_PAD src0_sel:DWORD src1_sel:BYTE_0
	v_add_f32_e32 v1, v1, v29
	v_add3_u32 v10, v10, v11, v46
	ds_write2_b32 v10, v1, v7 offset1:11
	ds_write_b32 v10, v6 offset:88
.LBB0_20:
	s_or_b64 exec, exec, s[6:7]
	s_waitcnt lgkmcnt(0)
	s_barrier
	s_and_saveexec_b64 s[0:1], vcc
	s_cbranch_execz .LBB0_22
; %bb.21:
	v_mul_lo_u32 v1, s3, v4
	v_mul_lo_u32 v6, s2, v5
	v_mad_u64_u32 v[4:5], s[0:1], s2, v4, 0
	v_add3_u32 v5, v5, v6, v1
	v_mul_u32_u24_e32 v1, 10, v38
	v_lshlrev_b32_e32 v21, 3, v1
	v_add_u32_e32 v6, 0x400, v8
	ds_read_b32 v38, v9
	ds_read_b32 v30, v45
	;; [unrolled: 1-line block ×3, first 2 shown]
	ds_read_b32 v58, v8 offset:1320
	ds_read_b32 v1, v43
	ds_read2_b32 v[60:61], v6 offset0:8 offset1:41
	ds_read2_b32 v[62:63], v8 offset0:132 offset1:165
	global_load_dwordx4 v[34:37], v21, s[4:5] offset:240
	global_load_dwordx4 v[40:43], v21, s[4:5] offset:192
	;; [unrolled: 1-line block ×5, first 2 shown]
	v_lshl_add_u64 v[4:5], v[4:5], 3, s[10:11]
	v_lshl_add_u64 v[12:13], v[2:3], 3, v[4:5]
	v_add_u32_e32 v5, 33, v39
	v_mad_u64_u32 v[2:3], s[0:1], s16, v5, 0
	v_mad_u64_u32 v[6:7], s[0:1], s16, v39, 0
	v_mov_b32_e32 v4, v3
	v_mov_b32_e32 v10, v7
	v_mad_u64_u32 v[4:5], s[0:1], s17, v5, v[4:5]
	v_add_u32_e32 v9, 0x42, v39
	v_mad_u64_u32 v[10:11], s[0:1], s17, v39, v[10:11]
	v_mov_b32_e32 v3, v4
	v_mad_u64_u32 v[4:5], s[0:1], s16, v9, 0
	v_mov_b32_e32 v7, v10
	v_mov_b32_e32 v10, v5
	v_mad_u64_u32 v[10:11], s[0:1], s17, v9, v[10:11]
	v_add_u32_e32 v9, 0x63, v39
	v_mov_b32_e32 v5, v10
	v_mad_u64_u32 v[10:11], s[0:1], s16, v9, 0
	v_mov_b32_e32 v14, v11
	v_mad_u64_u32 v[14:15], s[0:1], s17, v9, v[14:15]
	v_add_u32_e32 v9, 0x84, v39
	v_mov_b32_e32 v11, v14
	v_mad_u64_u32 v[14:15], s[0:1], s16, v9, 0
	v_mov_b32_e32 v28, v15
	v_mad_u64_u32 v[28:29], s[0:1], s17, v9, v[28:29]
	v_add_u32_e32 v9, 0xa5, v39
	v_mad_u64_u32 v[64:65], s[0:1], s16, v9, 0
	v_mov_b32_e32 v15, v28
	v_mov_b32_e32 v28, v65
	v_mad_u64_u32 v[28:29], s[0:1], s17, v9, v[28:29]
	v_add_u32_e32 v9, 0xc6, v39
	v_mad_u64_u32 v[66:67], s[0:1], s16, v9, 0
	v_mov_b32_e32 v65, v28
	v_mov_b32_e32 v28, v67
	v_mad_u64_u32 v[28:29], s[0:1], s17, v9, v[28:29]
	v_add_u32_e32 v9, 0xe7, v39
	v_mad_u64_u32 v[68:69], s[0:1], s16, v9, 0
	v_lshl_add_u64 v[82:83], v[2:3], 3, v[12:13]
	v_lshl_add_u64 v[2:3], v[64:65], 3, v[12:13]
	v_mov_b32_e32 v67, v28
	v_mov_b32_e32 v28, v69
	v_mad_u64_u32 v[28:29], s[0:1], s17, v9, v[28:29]
	v_add_u32_e32 v9, 0x108, v39
	ds_read2_b32 v[78:79], v8 offset0:198 offset1:231
	v_mad_u64_u32 v[70:71], s[0:1], s16, v9, 0
	v_mov_b32_e32 v69, v28
	v_mov_b32_e32 v28, v71
	v_mad_u64_u32 v[28:29], s[0:1], s17, v9, v[28:29]
	v_add_u32_e32 v9, 0x129, v39
	v_mad_u64_u32 v[72:73], s[0:1], s16, v9, 0
	v_mov_b32_e32 v71, v28
	v_mov_b32_e32 v28, v73
	v_mad_u64_u32 v[28:29], s[0:1], s17, v9, v[28:29]
	v_add_u32_e32 v9, 0x14a, v39
	v_mad_u64_u32 v[74:75], s[0:1], s16, v9, 0
	s_waitcnt vmcnt(4) lgkmcnt(4)
	v_pk_mul_f32 v[58:59], v[36:37], v[58:59] op_sel_hi:[1,0]
	s_waitcnt vmcnt(2)
	v_pk_mul_f32 v[30:31], v[46:47], v[30:31] op_sel_hi:[1,0]
	v_pk_fma_f32 v[64:65], v[22:23], v[36:37], v[58:59] op_sel:[0,0,1] op_sel_hi:[1,1,0] neg_lo:[0,0,1] neg_hi:[0,0,1]
	v_pk_fma_f32 v[22:23], v[22:23], v[36:37], v[58:59] op_sel:[0,0,1] op_sel_hi:[0,1,0]
	v_mov_b32_e32 v65, v23
	v_pk_mul_f32 v[22:23], v[44:45], v[56:57] op_sel_hi:[1,0]
	v_mov_b32_e32 v56, v33
	v_pk_fma_f32 v[36:37], v[20:21], v[44:45], v[22:23] op_sel:[0,0,1] op_sel_hi:[1,1,0] neg_lo:[0,0,1] neg_hi:[0,0,1]
	v_pk_fma_f32 v[20:21], v[20:21], v[44:45], v[22:23] op_sel:[0,0,1] op_sel_hi:[0,1,0]
	s_waitcnt lgkmcnt(2)
	v_mov_b32_e32 v22, v61
	v_pk_mul_f32 v[22:23], v[34:35], v[22:23] op_sel_hi:[1,0]
	v_mov_b32_e32 v44, v33
	v_pk_fma_f32 v[44:45], v[44:45], v[34:35], v[22:23] op_sel:[0,0,1] op_sel_hi:[1,1,0] neg_lo:[0,0,1] neg_hi:[0,0,1]
	v_pk_fma_f32 v[34:35], v[56:57], v[34:35], v[22:23] op_sel:[0,0,1] op_sel_hi:[0,1,0]
	v_mov_b32_e32 v45, v35
	s_waitcnt vmcnt(1)
	v_pk_mul_f32 v[34:35], v[50:51], v[60:61] op_sel_hi:[1,0]
	v_pk_fma_f32 v[56:57], v[24:25], v[46:47], v[30:31] op_sel:[0,0,1] op_sel_hi:[1,1,0] neg_lo:[0,0,1] neg_hi:[0,0,1]
	v_pk_fma_f32 v[24:25], v[24:25], v[46:47], v[30:31] op_sel:[0,0,1] op_sel_hi:[0,1,0]
	v_pk_fma_f32 v[46:47], v[32:33], v[50:51], v[34:35] op_sel:[0,0,1] op_sel_hi:[1,1,0] neg_lo:[0,0,1] neg_hi:[0,0,1]
	v_pk_fma_f32 v[32:33], v[32:33], v[50:51], v[34:35] op_sel:[0,0,1] op_sel_hi:[0,1,0]
	v_mov_b32_e32 v47, v33
	v_pk_mul_f32 v[32:33], v[40:41], v[38:39] op_sel_hi:[1,0]
	s_waitcnt lgkmcnt(0)
	v_mov_b32_e32 v34, v79
	v_pk_fma_f32 v[38:39], v[26:27], v[40:41], v[32:33] op_sel:[0,0,1] op_sel_hi:[1,1,0] neg_lo:[0,0,1] neg_hi:[0,0,1]
	v_pk_fma_f32 v[26:27], v[26:27], v[40:41], v[32:33] op_sel:[0,0,1] op_sel_hi:[0,1,0]
	v_pk_mul_f32 v[34:35], v[48:49], v[34:35] op_sel_hi:[1,0]
	v_mov_b32_e32 v40, v19
	v_mov_b32_e32 v50, v19
	v_pk_fma_f32 v[40:41], v[40:41], v[48:49], v[34:35] op_sel:[0,0,1] op_sel_hi:[1,1,0] neg_lo:[0,0,1] neg_hi:[0,0,1]
	v_pk_fma_f32 v[34:35], v[50:51], v[48:49], v[34:35] op_sel:[0,0,1] op_sel_hi:[0,1,0]
	v_mov_b32_e32 v41, v35
	v_pk_mul_f32 v[34:35], v[42:43], v[62:63] op_sel_hi:[1,0]
	s_waitcnt vmcnt(0)
	v_pk_mul_f32 v[50:51], v[54:55], v[78:79] op_sel_hi:[1,0]
	v_pk_fma_f32 v[48:49], v[16:17], v[42:43], v[34:35] op_sel:[0,0,1] op_sel_hi:[1,1,0] neg_lo:[0,0,1] neg_hi:[0,0,1]
	v_pk_fma_f32 v[34:35], v[16:17], v[42:43], v[34:35] op_sel:[0,0,1] op_sel_hi:[0,1,0]
	v_pk_fma_f32 v[58:59], v[18:19], v[54:55], v[50:51] op_sel:[0,0,1] op_sel_hi:[1,1,0] neg_lo:[0,0,1] neg_hi:[0,0,1]
	v_pk_fma_f32 v[18:19], v[18:19], v[54:55], v[50:51] op_sel:[0,0,1] op_sel_hi:[0,1,0]
	v_mov_b32_e32 v16, v63
	v_mov_b32_e32 v37, v21
	;; [unrolled: 1-line block ×3, first 2 shown]
	v_pk_mul_f32 v[18:19], v[52:53], v[16:17] op_sel_hi:[1,0]
	v_mov_b32_e32 v16, v17
	v_mov_b32_e32 v50, v17
	;; [unrolled: 1-line block ×4, first 2 shown]
	v_pk_add_f32 v[20:21], v[36:37], v[64:65] neg_lo:[0,1] neg_hi:[0,1]
	v_mov_b32_e32 v57, v25
	v_pk_fma_f32 v[16:17], v[16:17], v[52:53], v[18:19] op_sel:[0,0,1] op_sel_hi:[1,1,0] neg_lo:[0,0,1] neg_hi:[0,0,1]
	v_pk_fma_f32 v[18:19], v[50:51], v[52:53], v[18:19] op_sel:[0,0,1] op_sel_hi:[0,1,0]
	s_mov_b32 s14, 0xbf0a6770
	v_mad_u64_u32 v[76:77], s[0:1], s17, v9, v[28:29]
	v_pk_add_f32 v[22:23], v[36:37], v[64:65]
	v_pk_add_f32 v[30:31], v[56:57], v[44:45] neg_lo:[0,1] neg_hi:[0,1]
	v_mov_b32_e32 v17, v19
	s_mov_b32 s4, 0x3f575c64
	v_pk_mul_f32 v[18:19], v[20:21], s[14:15] op_sel:[1,0] op_sel_hi:[0,0]
	s_mov_b32 s18, 0xbf68dda4
	v_pk_add_f32 v[24:25], v[56:57], v[44:45]
	v_mov_b32_e32 v39, v27
	s_mov_b32 s0, 0x3ed4b147
	v_pk_mul_f32 v[50:51], v[30:31], s[18:19] op_sel:[1,0] op_sel_hi:[0,0]
	v_pk_fma_f32 v[54:55], v[22:23], s[4:5], v[18:19] op_sel_hi:[1,0,1]
	v_pk_fma_f32 v[18:19], v[22:23], s[4:5], v[18:19] op_sel_hi:[1,0,1] neg_lo:[0,0,1] neg_hi:[0,0,1]
	v_pk_add_f32 v[32:33], v[38:39], v[46:47] neg_lo:[0,1] neg_hi:[0,1]
	s_mov_b32 s8, 0xbf7d64f0
	v_mov_b32_e32 v60, v54
	v_mov_b32_e32 v61, v19
	v_pk_fma_f32 v[62:63], v[24:25], s[0:1], v[50:51] op_sel_hi:[1,0,1]
	v_pk_fma_f32 v[50:51], v[24:25], s[0:1], v[50:51] op_sel_hi:[1,0,1] neg_lo:[0,0,1] neg_hi:[0,0,1]
	v_lshl_add_u64 v[84:85], v[4:5], 3, v[12:13]
	v_lshl_add_u64 v[4:5], v[66:67], 3, v[12:13]
	v_pk_add_f32 v[26:27], v[38:39], v[46:47]
	s_mov_b32 s2, 0xbe11bafb
	v_pk_mul_f32 v[52:53], v[32:33], s[8:9] op_sel:[1,0] op_sel_hi:[0,0]
	v_pk_add_f32 v[60:61], v[0:1], v[60:61]
	v_mov_b32_e32 v66, v62
	v_mov_b32_e32 v67, v51
	;; [unrolled: 1-line block ×3, first 2 shown]
	v_pk_add_f32 v[60:61], v[60:61], v[66:67]
	v_pk_fma_f32 v[66:67], v[26:27], s[2:3], v[52:53] op_sel_hi:[1,0,1]
	v_pk_fma_f32 v[52:53], v[26:27], s[2:3], v[52:53] op_sel_hi:[1,0,1] neg_lo:[0,0,1] neg_hi:[0,0,1]
	v_lshl_add_u64 v[80:81], v[6:7], 3, v[12:13]
	v_lshl_add_u64 v[6:7], v[68:69], 3, v[12:13]
	v_pk_add_f32 v[42:43], v[48:49], v[40:41] neg_lo:[0,1] neg_hi:[0,1]
	s_mov_b32 s10, 0xbf4178ce
	v_mov_b32_e32 v68, v66
	v_mov_b32_e32 v69, v53
	v_pk_add_f32 v[36:37], v[0:1], v[36:37]
	v_pk_add_f32 v[34:35], v[48:49], v[40:41]
	s_mov_b32 s6, 0xbf27a4f4
	v_pk_add_f32 v[60:61], v[60:61], v[68:69]
	v_pk_mul_f32 v[68:69], v[42:43], s[10:11] op_sel:[1,0] op_sel_hi:[0,0]
	v_pk_add_f32 v[36:37], v[36:37], v[56:57]
	v_lshl_add_u64 v[8:9], v[70:71], 3, v[12:13]
	v_pk_fma_f32 v[70:71], v[34:35], s[6:7], v[68:69] op_sel_hi:[1,0,1]
	v_pk_fma_f32 v[68:69], v[34:35], s[6:7], v[68:69] op_sel_hi:[1,0,1] neg_lo:[0,0,1] neg_hi:[0,0,1]
	v_pk_add_f32 v[36:37], v[36:37], v[38:39]
	v_lshl_add_u64 v[28:29], v[10:11], 3, v[12:13]
	v_lshl_add_u64 v[10:11], v[72:73], 3, v[12:13]
	v_mov_b32_e32 v75, v76
	v_mov_b32_e32 v72, v70
	v_mov_b32_e32 v73, v69
	v_pk_add_f32 v[36:37], v[36:37], v[48:49]
	v_lshl_add_u64 v[14:15], v[14:15], 3, v[12:13]
	v_lshl_add_u64 v[12:13], v[74:75], 3, v[12:13]
	v_pk_add_f32 v[60:61], v[60:61], v[72:73]
	v_pk_add_f32 v[72:73], v[16:17], v[58:59] neg_lo:[0,1] neg_hi:[0,1]
	v_pk_add_f32 v[74:75], v[16:17], v[58:59]
	v_pk_add_f32 v[16:17], v[36:37], v[16:17]
	v_mov_b32_e32 v19, v55
	v_pk_add_f32 v[16:17], v[16:17], v[58:59]
	s_mov_b32 s16, 0xbe903f40
	v_pk_add_f32 v[16:17], v[40:41], v[16:17]
	v_mov_b32_e32 v51, v63
	v_pk_add_f32 v[16:17], v[46:47], v[16:17]
	s_mov_b32 s12, 0xbf75a155
	v_pk_add_f32 v[16:17], v[44:45], v[16:17]
	v_pk_mul_f32 v[76:77], v[72:73], s[16:17] op_sel:[1,0] op_sel_hi:[0,0]
	v_pk_add_f32 v[16:17], v[64:65], v[16:17]
	global_store_dwordx2 v[80:81], v[16:17], off
	v_pk_add_f32 v[16:17], v[0:1], v[18:19]
	v_mov_b32_e32 v53, v67
	v_pk_add_f32 v[16:17], v[16:17], v[50:51]
	v_pk_fma_f32 v[78:79], v[74:75], s[12:13], v[76:77] op_sel_hi:[1,0,1]
	v_pk_fma_f32 v[76:77], v[74:75], s[12:13], v[76:77] op_sel_hi:[1,0,1] neg_lo:[0,0,1] neg_hi:[0,0,1]
	v_pk_add_f32 v[16:17], v[16:17], v[52:53]
	v_mov_b32_e32 v69, v71
	v_mov_b32_e32 v87, v77
	v_pk_add_f32 v[16:17], v[16:17], v[68:69]
	v_mov_b32_e32 v77, v79
	v_pk_add_f32 v[16:17], v[16:17], v[76:77]
	global_store_dwordx2 v[82:83], v[16:17], off
	v_pk_mul_f32 v[16:17], v[20:21], s[18:19] op_sel:[1,0] op_sel_hi:[0,0]
	v_pk_mul_f32 v[18:19], v[30:31], s[10:11] op_sel:[1,0] op_sel_hi:[0,0]
	v_pk_fma_f32 v[44:45], v[22:23], s[0:1], v[16:17] op_sel_hi:[1,0,1]
	v_pk_fma_f32 v[16:17], v[22:23], s[0:1], v[16:17] op_sel_hi:[1,0,1] neg_lo:[0,0,1] neg_hi:[0,0,1]
	v_mov_b32_e32 v46, v44
	v_mov_b32_e32 v47, v17
	v_pk_fma_f32 v[48:49], v[24:25], s[6:7], v[18:19] op_sel_hi:[1,0,1]
	v_pk_fma_f32 v[18:19], v[24:25], s[6:7], v[18:19] op_sel_hi:[1,0,1] neg_lo:[0,0,1] neg_hi:[0,0,1]
	v_pk_mul_f32 v[36:37], v[32:33], s[20:21] op_sel:[1,0] op_sel_hi:[0,0]
	v_pk_add_f32 v[46:47], v[0:1], v[46:47]
	v_mov_b32_e32 v50, v48
	v_mov_b32_e32 v51, v19
	s_mov_b32 s22, 0x3f7d64f0
	v_pk_add_f32 v[46:47], v[46:47], v[50:51]
	v_pk_fma_f32 v[50:51], v[26:27], s[12:13], v[36:37] op_sel_hi:[1,0,1]
	v_pk_fma_f32 v[36:37], v[26:27], s[12:13], v[36:37] op_sel_hi:[1,0,1] neg_lo:[0,0,1] neg_hi:[0,0,1]
	v_pk_mul_f32 v[38:39], v[42:43], s[22:23] op_sel:[1,0] op_sel_hi:[0,0]
	v_mov_b32_e32 v52, v50
	v_mov_b32_e32 v53, v37
	;; [unrolled: 1-line block ×3, first 2 shown]
	s_mov_b32 s18, 0x3f0a6770
	v_pk_add_f32 v[46:47], v[46:47], v[52:53]
	v_pk_fma_f32 v[52:53], v[34:35], s[2:3], v[38:39] op_sel_hi:[1,0,1]
	v_pk_fma_f32 v[38:39], v[34:35], s[2:3], v[38:39] op_sel_hi:[1,0,1] neg_lo:[0,0,1] neg_hi:[0,0,1]
	v_pk_add_f32 v[16:17], v[0:1], v[16:17]
	v_mov_b32_e32 v19, v49
	v_pk_mul_f32 v[40:41], v[72:73], s[18:19] op_sel:[1,0] op_sel_hi:[0,0]
	v_mov_b32_e32 v54, v52
	v_mov_b32_e32 v55, v39
	v_pk_add_f32 v[16:17], v[16:17], v[18:19]
	v_mov_b32_e32 v37, v51
	v_pk_add_f32 v[46:47], v[46:47], v[54:55]
	v_pk_fma_f32 v[54:55], v[74:75], s[4:5], v[40:41] op_sel_hi:[1,0,1]
	v_pk_fma_f32 v[40:41], v[74:75], s[4:5], v[40:41] op_sel_hi:[1,0,1] neg_lo:[0,0,1] neg_hi:[0,0,1]
	v_pk_add_f32 v[16:17], v[16:17], v[36:37]
	v_mov_b32_e32 v39, v53
	v_mov_b32_e32 v57, v41
	v_pk_add_f32 v[16:17], v[16:17], v[38:39]
	v_mov_b32_e32 v41, v55
	v_pk_add_f32 v[16:17], v[16:17], v[40:41]
	global_store_dwordx2 v[84:85], v[16:17], off
	v_pk_mul_f32 v[16:17], v[20:21], s[8:9] op_sel:[1,0] op_sel_hi:[0,0]
	v_pk_mul_f32 v[18:19], v[30:31], s[20:21] op_sel:[1,0] op_sel_hi:[0,0]
	v_pk_fma_f32 v[44:45], v[22:23], s[2:3], v[16:17] op_sel_hi:[1,0,1]
	v_pk_fma_f32 v[16:17], v[22:23], s[2:3], v[16:17] op_sel_hi:[1,0,1] neg_lo:[0,0,1] neg_hi:[0,0,1]
	s_mov_b32 s20, 0x3f68dda4
	v_mov_b32_e32 v48, v44
	v_mov_b32_e32 v49, v17
	v_pk_fma_f32 v[50:51], v[24:25], s[12:13], v[18:19] op_sel_hi:[1,0,1]
	v_pk_fma_f32 v[18:19], v[24:25], s[12:13], v[18:19] op_sel_hi:[1,0,1] neg_lo:[0,0,1] neg_hi:[0,0,1]
	v_pk_mul_f32 v[36:37], v[32:33], s[20:21] op_sel:[1,0] op_sel_hi:[0,0]
	v_pk_add_f32 v[48:49], v[0:1], v[48:49]
	v_mov_b32_e32 v52, v50
	v_mov_b32_e32 v53, v19
	v_pk_add_f32 v[48:49], v[48:49], v[52:53]
	v_pk_fma_f32 v[52:53], v[26:27], s[0:1], v[36:37] op_sel_hi:[1,0,1]
	v_pk_fma_f32 v[36:37], v[26:27], s[0:1], v[36:37] op_sel_hi:[1,0,1] neg_lo:[0,0,1] neg_hi:[0,0,1]
	v_mov_b32_e32 v56, v54
	v_pk_mul_f32 v[38:39], v[42:43], s[14:15] op_sel:[1,0] op_sel_hi:[0,0]
	v_mov_b32_e32 v54, v52
	v_mov_b32_e32 v55, v37
	;; [unrolled: 1-line block ×3, first 2 shown]
	v_pk_add_f32 v[48:49], v[48:49], v[54:55]
	v_pk_fma_f32 v[54:55], v[34:35], s[4:5], v[38:39] op_sel_hi:[1,0,1]
	v_pk_fma_f32 v[38:39], v[34:35], s[4:5], v[38:39] op_sel_hi:[1,0,1] neg_lo:[0,0,1] neg_hi:[0,0,1]
	v_pk_add_f32 v[16:17], v[0:1], v[16:17]
	v_mov_b32_e32 v19, v51
	v_pk_add_f32 v[46:47], v[46:47], v[56:57]
	v_pk_mul_f32 v[40:41], v[72:73], s[10:11] op_sel:[1,0] op_sel_hi:[0,0]
	v_mov_b32_e32 v56, v54
	v_mov_b32_e32 v57, v39
	v_pk_add_f32 v[16:17], v[16:17], v[18:19]
	v_mov_b32_e32 v37, v53
	v_pk_add_f32 v[48:49], v[48:49], v[56:57]
	v_pk_fma_f32 v[56:57], v[74:75], s[6:7], v[40:41] op_sel_hi:[1,0,1]
	v_pk_fma_f32 v[40:41], v[74:75], s[6:7], v[40:41] op_sel_hi:[1,0,1] neg_lo:[0,0,1] neg_hi:[0,0,1]
	v_pk_add_f32 v[16:17], v[16:17], v[36:37]
	v_mov_b32_e32 v39, v55
	v_mov_b32_e32 v59, v41
	v_pk_add_f32 v[16:17], v[16:17], v[38:39]
	v_mov_b32_e32 v41, v57
	v_pk_add_f32 v[16:17], v[16:17], v[40:41]
	global_store_dwordx2 v[28:29], v[16:17], off
	v_pk_mul_f32 v[16:17], v[20:21], s[10:11] op_sel:[1,0] op_sel_hi:[0,0]
	v_pk_mul_f32 v[18:19], v[30:31], s[22:23] op_sel:[1,0] op_sel_hi:[0,0]
	v_pk_fma_f32 v[40:41], v[22:23], s[6:7], v[16:17] op_sel_hi:[1,0,1]
	v_pk_fma_f32 v[16:17], v[22:23], s[6:7], v[16:17] op_sel_hi:[1,0,1] neg_lo:[0,0,1] neg_hi:[0,0,1]
	v_mov_b32_e32 v44, v40
	v_mov_b32_e32 v45, v17
	v_pk_fma_f32 v[50:51], v[24:25], s[2:3], v[18:19] op_sel_hi:[1,0,1]
	v_pk_fma_f32 v[18:19], v[24:25], s[2:3], v[18:19] op_sel_hi:[1,0,1] neg_lo:[0,0,1] neg_hi:[0,0,1]
	v_pk_mul_f32 v[28:29], v[32:33], s[14:15] op_sel:[1,0] op_sel_hi:[0,0]
	v_pk_add_f32 v[44:45], v[0:1], v[44:45]
	v_mov_b32_e32 v52, v50
	v_mov_b32_e32 v53, v19
	v_pk_add_f32 v[44:45], v[44:45], v[52:53]
	v_pk_fma_f32 v[52:53], v[26:27], s[4:5], v[28:29] op_sel_hi:[1,0,1]
	v_pk_fma_f32 v[28:29], v[26:27], s[4:5], v[28:29] op_sel_hi:[1,0,1] neg_lo:[0,0,1] neg_hi:[0,0,1]
	v_pk_mul_f32 v[36:37], v[42:43], s[16:17] op_sel:[1,0] op_sel_hi:[0,0]
	v_mov_b32_e32 v54, v52
	v_mov_b32_e32 v55, v29
	;; [unrolled: 1-line block ×3, first 2 shown]
	v_pk_add_f32 v[44:45], v[44:45], v[54:55]
	v_pk_fma_f32 v[54:55], v[34:35], s[12:13], v[36:37] op_sel_hi:[1,0,1]
	v_pk_fma_f32 v[36:37], v[34:35], s[12:13], v[36:37] op_sel_hi:[1,0,1] neg_lo:[0,0,1] neg_hi:[0,0,1]
	v_pk_add_f32 v[16:17], v[0:1], v[16:17]
	v_mov_b32_e32 v19, v51
	v_mov_b32_e32 v58, v56
	v_pk_mul_f32 v[38:39], v[72:73], s[20:21] op_sel:[1,0] op_sel_hi:[0,0]
	v_mov_b32_e32 v56, v54
	v_mov_b32_e32 v57, v37
	v_pk_add_f32 v[16:17], v[16:17], v[18:19]
	v_mov_b32_e32 v29, v53
	v_pk_add_f32 v[44:45], v[44:45], v[56:57]
	v_pk_fma_f32 v[56:57], v[74:75], s[0:1], v[38:39] op_sel_hi:[1,0,1]
	v_pk_fma_f32 v[38:39], v[74:75], s[0:1], v[38:39] op_sel_hi:[1,0,1] neg_lo:[0,0,1] neg_hi:[0,0,1]
	v_pk_add_f32 v[16:17], v[16:17], v[28:29]
	v_mov_b32_e32 v37, v55
	v_pk_add_f32 v[48:49], v[48:49], v[58:59]
	v_mov_b32_e32 v59, v39
	;; [unrolled: 2-line block ×3, first 2 shown]
	v_pk_add_f32 v[16:17], v[16:17], v[38:39]
	global_store_dwordx2 v[14:15], v[16:17], off
	v_pk_mul_f32 v[14:15], v[20:21], s[16:17] op_sel:[1,0] op_sel_hi:[0,0]
	v_pk_mul_f32 v[16:17], v[30:31], s[18:19] op_sel:[1,0] op_sel_hi:[0,0]
	v_pk_fma_f32 v[30:31], v[22:23], s[12:13], v[14:15] op_sel_hi:[1,0,1]
	v_pk_fma_f32 v[14:15], v[22:23], s[12:13], v[14:15] op_sel_hi:[1,0,1] neg_lo:[0,0,1] neg_hi:[0,0,1]
	v_pk_mul_f32 v[18:19], v[32:33], s[10:11] op_sel:[1,0] op_sel_hi:[0,0]
	v_mov_b32_e32 v22, v30
	v_mov_b32_e32 v23, v15
	v_pk_fma_f32 v[32:33], v[24:25], s[4:5], v[16:17] op_sel_hi:[1,0,1]
	v_pk_fma_f32 v[16:17], v[24:25], s[4:5], v[16:17] op_sel_hi:[1,0,1] neg_lo:[0,0,1] neg_hi:[0,0,1]
	v_pk_add_f32 v[22:23], v[0:1], v[22:23]
	v_mov_b32_e32 v24, v32
	v_mov_b32_e32 v25, v17
	v_pk_add_f32 v[22:23], v[22:23], v[24:25]
	v_pk_fma_f32 v[24:25], v[26:27], s[6:7], v[18:19] op_sel_hi:[1,0,1]
	v_pk_fma_f32 v[18:19], v[26:27], s[6:7], v[18:19] op_sel_hi:[1,0,1] neg_lo:[0,0,1] neg_hi:[0,0,1]
	v_pk_mul_f32 v[20:21], v[42:43], s[20:21] op_sel:[1,0] op_sel_hi:[0,0]
	v_mov_b32_e32 v26, v24
	v_mov_b32_e32 v27, v19
	v_mov_b32_e32 v15, v31
	v_pk_add_f32 v[22:23], v[22:23], v[26:27]
	v_pk_fma_f32 v[26:27], v[34:35], s[0:1], v[20:21] op_sel_hi:[1,0,1]
	v_pk_fma_f32 v[20:21], v[34:35], s[0:1], v[20:21] op_sel_hi:[1,0,1] neg_lo:[0,0,1] neg_hi:[0,0,1]
	v_pk_add_f32 v[0:1], v[0:1], v[14:15]
	v_mov_b32_e32 v17, v33
	v_pk_mul_f32 v[28:29], v[72:73], s[8:9] op_sel:[1,0] op_sel_hi:[0,0]
	v_mov_b32_e32 v34, v26
	v_mov_b32_e32 v35, v21
	v_pk_add_f32 v[0:1], v[0:1], v[16:17]
	v_mov_b32_e32 v19, v25
	v_pk_add_f32 v[22:23], v[22:23], v[34:35]
	v_pk_fma_f32 v[34:35], v[74:75], s[2:3], v[28:29] op_sel_hi:[1,0,1]
	v_pk_fma_f32 v[28:29], v[74:75], s[2:3], v[28:29] op_sel_hi:[1,0,1] neg_lo:[0,0,1] neg_hi:[0,0,1]
	v_pk_add_f32 v[0:1], v[0:1], v[18:19]
	v_mov_b32_e32 v21, v27
	v_mov_b32_e32 v37, v29
	v_pk_add_f32 v[0:1], v[0:1], v[20:21]
	v_mov_b32_e32 v29, v35
	v_mov_b32_e32 v86, v78
	;; [unrolled: 1-line block ×4, first 2 shown]
	v_pk_add_f32 v[0:1], v[0:1], v[28:29]
	v_pk_add_f32 v[60:61], v[60:61], v[86:87]
	;; [unrolled: 1-line block ×4, first 2 shown]
	global_store_dwordx2 v[2:3], v[0:1], off
	global_store_dwordx2 v[4:5], v[22:23], off
	;; [unrolled: 1-line block ×6, first 2 shown]
.LBB0_22:
	s_endpgm
	.section	.rodata,"a",@progbits
	.p2align	6, 0x0
	.amdhsa_kernel fft_rtc_fwd_len363_factors_11_3_11_wgs_99_tpt_33_halfLds_sp_op_CI_CI_sbrr_dirReg
		.amdhsa_group_segment_fixed_size 0
		.amdhsa_private_segment_fixed_size 0
		.amdhsa_kernarg_size 104
		.amdhsa_user_sgpr_count 2
		.amdhsa_user_sgpr_dispatch_ptr 0
		.amdhsa_user_sgpr_queue_ptr 0
		.amdhsa_user_sgpr_kernarg_segment_ptr 1
		.amdhsa_user_sgpr_dispatch_id 0
		.amdhsa_user_sgpr_kernarg_preload_length 0
		.amdhsa_user_sgpr_kernarg_preload_offset 0
		.amdhsa_user_sgpr_private_segment_size 0
		.amdhsa_uses_dynamic_stack 0
		.amdhsa_enable_private_segment 0
		.amdhsa_system_sgpr_workgroup_id_x 1
		.amdhsa_system_sgpr_workgroup_id_y 0
		.amdhsa_system_sgpr_workgroup_id_z 0
		.amdhsa_system_sgpr_workgroup_info 0
		.amdhsa_system_vgpr_workitem_id 0
		.amdhsa_next_free_vgpr 88
		.amdhsa_next_free_sgpr 44
		.amdhsa_accum_offset 88
		.amdhsa_reserve_vcc 1
		.amdhsa_float_round_mode_32 0
		.amdhsa_float_round_mode_16_64 0
		.amdhsa_float_denorm_mode_32 3
		.amdhsa_float_denorm_mode_16_64 3
		.amdhsa_dx10_clamp 1
		.amdhsa_ieee_mode 1
		.amdhsa_fp16_overflow 0
		.amdhsa_tg_split 0
		.amdhsa_exception_fp_ieee_invalid_op 0
		.amdhsa_exception_fp_denorm_src 0
		.amdhsa_exception_fp_ieee_div_zero 0
		.amdhsa_exception_fp_ieee_overflow 0
		.amdhsa_exception_fp_ieee_underflow 0
		.amdhsa_exception_fp_ieee_inexact 0
		.amdhsa_exception_int_div_zero 0
	.end_amdhsa_kernel
	.text
.Lfunc_end0:
	.size	fft_rtc_fwd_len363_factors_11_3_11_wgs_99_tpt_33_halfLds_sp_op_CI_CI_sbrr_dirReg, .Lfunc_end0-fft_rtc_fwd_len363_factors_11_3_11_wgs_99_tpt_33_halfLds_sp_op_CI_CI_sbrr_dirReg
                                        ; -- End function
	.section	.AMDGPU.csdata,"",@progbits
; Kernel info:
; codeLenInByte = 8088
; NumSgprs: 50
; NumVgprs: 88
; NumAgprs: 0
; TotalNumVgprs: 88
; ScratchSize: 0
; MemoryBound: 0
; FloatMode: 240
; IeeeMode: 1
; LDSByteSize: 0 bytes/workgroup (compile time only)
; SGPRBlocks: 6
; VGPRBlocks: 10
; NumSGPRsForWavesPerEU: 50
; NumVGPRsForWavesPerEU: 88
; AccumOffset: 88
; Occupancy: 5
; WaveLimiterHint : 1
; COMPUTE_PGM_RSRC2:SCRATCH_EN: 0
; COMPUTE_PGM_RSRC2:USER_SGPR: 2
; COMPUTE_PGM_RSRC2:TRAP_HANDLER: 0
; COMPUTE_PGM_RSRC2:TGID_X_EN: 1
; COMPUTE_PGM_RSRC2:TGID_Y_EN: 0
; COMPUTE_PGM_RSRC2:TGID_Z_EN: 0
; COMPUTE_PGM_RSRC2:TIDIG_COMP_CNT: 0
; COMPUTE_PGM_RSRC3_GFX90A:ACCUM_OFFSET: 21
; COMPUTE_PGM_RSRC3_GFX90A:TG_SPLIT: 0
	.text
	.p2alignl 6, 3212836864
	.fill 256, 4, 3212836864
	.type	__hip_cuid_844ebe4768473d98,@object ; @__hip_cuid_844ebe4768473d98
	.section	.bss,"aw",@nobits
	.globl	__hip_cuid_844ebe4768473d98
__hip_cuid_844ebe4768473d98:
	.byte	0                               ; 0x0
	.size	__hip_cuid_844ebe4768473d98, 1

	.ident	"AMD clang version 19.0.0git (https://github.com/RadeonOpenCompute/llvm-project roc-6.4.0 25133 c7fe45cf4b819c5991fe208aaa96edf142730f1d)"
	.section	".note.GNU-stack","",@progbits
	.addrsig
	.addrsig_sym __hip_cuid_844ebe4768473d98
	.amdgpu_metadata
---
amdhsa.kernels:
  - .agpr_count:     0
    .args:
      - .actual_access:  read_only
        .address_space:  global
        .offset:         0
        .size:           8
        .value_kind:     global_buffer
      - .offset:         8
        .size:           8
        .value_kind:     by_value
      - .actual_access:  read_only
        .address_space:  global
        .offset:         16
        .size:           8
        .value_kind:     global_buffer
      - .actual_access:  read_only
        .address_space:  global
        .offset:         24
        .size:           8
        .value_kind:     global_buffer
      - .actual_access:  read_only
        .address_space:  global
        .offset:         32
        .size:           8
        .value_kind:     global_buffer
      - .offset:         40
        .size:           8
        .value_kind:     by_value
      - .actual_access:  read_only
        .address_space:  global
        .offset:         48
        .size:           8
        .value_kind:     global_buffer
      - .actual_access:  read_only
        .address_space:  global
        .offset:         56
        .size:           8
        .value_kind:     global_buffer
      - .offset:         64
        .size:           4
        .value_kind:     by_value
      - .actual_access:  read_only
        .address_space:  global
        .offset:         72
        .size:           8
        .value_kind:     global_buffer
      - .actual_access:  read_only
        .address_space:  global
        .offset:         80
        .size:           8
        .value_kind:     global_buffer
      - .actual_access:  read_only
        .address_space:  global
        .offset:         88
        .size:           8
        .value_kind:     global_buffer
      - .actual_access:  write_only
        .address_space:  global
        .offset:         96
        .size:           8
        .value_kind:     global_buffer
    .group_segment_fixed_size: 0
    .kernarg_segment_align: 8
    .kernarg_segment_size: 104
    .language:       OpenCL C
    .language_version:
      - 2
      - 0
    .max_flat_workgroup_size: 99
    .name:           fft_rtc_fwd_len363_factors_11_3_11_wgs_99_tpt_33_halfLds_sp_op_CI_CI_sbrr_dirReg
    .private_segment_fixed_size: 0
    .sgpr_count:     50
    .sgpr_spill_count: 0
    .symbol:         fft_rtc_fwd_len363_factors_11_3_11_wgs_99_tpt_33_halfLds_sp_op_CI_CI_sbrr_dirReg.kd
    .uniform_work_group_size: 1
    .uses_dynamic_stack: false
    .vgpr_count:     88
    .vgpr_spill_count: 0
    .wavefront_size: 64
amdhsa.target:   amdgcn-amd-amdhsa--gfx950
amdhsa.version:
  - 1
  - 2
...

	.end_amdgpu_metadata
